;; amdgpu-corpus repo=ROCm/rocFFT kind=compiled arch=gfx1201 opt=O3
	.text
	.amdgcn_target "amdgcn-amd-amdhsa--gfx1201"
	.amdhsa_code_object_version 6
	.protected	fft_rtc_back_len192_factors_6_4_4_2_wgs_256_tpt_32_dp_op_CI_CI_sbrc_erc_z_xy_aligned ; -- Begin function fft_rtc_back_len192_factors_6_4_4_2_wgs_256_tpt_32_dp_op_CI_CI_sbrc_erc_z_xy_aligned
	.globl	fft_rtc_back_len192_factors_6_4_4_2_wgs_256_tpt_32_dp_op_CI_CI_sbrc_erc_z_xy_aligned
	.p2align	8
	.type	fft_rtc_back_len192_factors_6_4_4_2_wgs_256_tpt_32_dp_op_CI_CI_sbrc_erc_z_xy_aligned,@function
fft_rtc_back_len192_factors_6_4_4_2_wgs_256_tpt_32_dp_op_CI_CI_sbrc_erc_z_xy_aligned: ; @fft_rtc_back_len192_factors_6_4_4_2_wgs_256_tpt_32_dp_op_CI_CI_sbrc_erc_z_xy_aligned
; %bb.0:
	s_load_b256 s[4:11], s[0:1], 0x0
	v_mul_u32_u24_e32 v1, 0x156, v0
	v_or_b32_e32 v3, 0x100, v0
	v_mov_b32_e32 v2, 0
	v_or_b32_e32 v4, 0x200, v0
	v_or_b32_e32 v5, 0x300, v0
	v_lshrrev_b32_e32 v25, 16, v1
	v_and_b32_e32 v1, 0xffff, v3
	v_or_b32_e32 v6, 0x400, v0
	v_and_b32_e32 v8, 0xffff, v4
	v_and_b32_e32 v9, 0xffff, v5
	v_or_b32_e32 v7, 0x500, v0
	v_mul_u32_u24_e32 v1, 0x156, v1
	v_and_b32_e32 v10, 0xffff, v6
	v_mul_u32_u24_e32 v8, 0x2ab, v8
	v_mul_u32_u24_e32 v9, 0x2ab, v9
	v_and_b32_e32 v11, 0xffff, v7
	v_lshrrev_b32_e32 v26, 16, v1
	v_mul_u32_u24_e32 v10, 0x2ab, v10
	v_lshrrev_b32_e32 v27, 17, v8
	s_wait_kmcnt 0x0
	s_load_b128 s[12:15], s[8:9], 0x8
	s_clause 0x1
	s_load_b64 s[8:9], s[0:1], 0x58
	s_load_b64 s[2:3], s[0:1], 0x20
	v_lshrrev_b32_e32 v28, 17, v9
	v_mul_lo_u16 v8, 0xc0, v26
	v_lshrrev_b32_e32 v29, 17, v10
	v_mul_lo_u16 v9, 0xc0, v27
	v_mul_lo_u16 v12, 0xc0, v25
	v_mul_lo_u16 v10, 0xc0, v28
	v_mul_u32_u24_e32 v11, 0x2ab, v11
	s_mov_b32 s19, 0
	v_lshrrev_b32_e32 v35, 5, v0
	v_sub_nc_u16 v12, v0, v12
	s_mov_b32 s17, s19
	v_lshrrev_b32_e32 v30, 17, v11
	v_mul_lo_u16 v11, 0xc0, v29
	v_mul_u32_u24_e32 v36, 0xc1, v35
	v_and_b32_e32 v31, 0xffff, v12
	v_and_b32_e32 v41, 31, v0
	v_mul_lo_u16 v12, 0xc0, v30
	s_wait_kmcnt 0x0
	s_add_co_i32 s12, s12, -1
	v_lshlrev_b32_e32 v40, 4, v36
	s_lshr_b32 s18, s12, 3
	v_lshlrev_b32_e32 v38, 4, v41
	s_add_co_i32 s20, s18, 1
	s_delay_alu instid0(SALU_CYCLE_1) | instskip(SKIP_4) | instid1(SALU_CYCLE_1)
	s_mul_i32 s21, s20, s14
	s_cvt_f32_u32 s22, s20
	s_cvt_f32_u32 s12, s21
	s_sub_co_i32 s23, 0, s21
	v_add_nc_u32_e32 v37, 0, v38
	v_rcp_iflag_f32_e32 v1, s12
	s_load_b128 s[12:15], s[10:11], 0x0
	s_wait_kmcnt 0x0
	s_load_b32 s15, s[10:11], 0x10
	v_add_nc_u32_e32 v35, v37, v40
	s_delay_alu instid0(TRANS32_DEP_1)
	v_readfirstlane_b32 s16, v1
	v_sub_nc_u16 v1, v3, v8
	v_sub_nc_u16 v3, v4, v9
	v_sub_nc_u16 v4, v5, v10
	v_sub_nc_u16 v5, v6, v11
	s_mul_f32 s16, s16, 0x4f7ffffe
	v_and_b32_e32 v32, 0xffff, v1
	v_rcp_iflag_f32_e32 v1, s22
	v_and_b32_e32 v34, 0xffff, v4
	s_cvt_u32_f32 s16, s16
	v_sub_nc_u16 v6, v7, v12
	v_and_b32_e32 v39, 0xffff, v5
	s_delay_alu instid0(SALU_CYCLE_1) | instskip(SKIP_3) | instid1(TRANS32_DEP_1)
	s_mul_i32 s23, s23, s16
	v_mad_co_u64_u32 v[9:10], null, s12, v34, 0
	s_wait_alu 0xfffe
	s_mul_hi_u32 s22, s16, s23
	v_readfirstlane_b32 s23, v1
	s_wait_alu 0xfffe
	s_add_co_i32 s16, s16, s22
	v_mul_lo_u32 v1, s14, v25
	s_mul_hi_u32 s16, ttmp9, s16
	v_and_b32_e32 v42, 0xffff, v6
	s_mul_i32 s22, s16, s21
	s_add_co_i32 s24, s16, 1
	s_wait_alu 0xfffe
	s_sub_co_i32 s22, ttmp9, s22
	s_mul_f32 s23, s23, 0x4f7ffffe
	s_wait_alu 0xfffe
	s_sub_co_i32 s25, s22, s21
	s_cmp_ge_u32 s22, s21
	v_lshlrev_b64_e32 v[11:12], 4, v[1:2]
	s_cselect_b32 s16, s24, s16
	s_cselect_b32 s22, s25, s22
	s_add_co_i32 s24, s16, 1
	s_wait_alu 0xfffe
	s_cmp_ge_u32 s22, s21
	s_cvt_u32_f32 s22, s23
	s_cselect_b32 s16, s24, s16
	s_not_b32 s18, s18
	s_mul_i32 s21, s16, s21
	s_wait_alu 0xfffe
	s_mul_i32 s18, s18, s22
	s_sub_co_i32 s21, ttmp9, s21
	s_mul_hi_u32 s18, s22, s18
	v_mad_co_u64_u32 v[18:19], null, s13, v34, v[10:11]
	s_add_co_i32 s22, s22, s18
	v_and_b32_e32 v33, 0xffff, v3
	s_wait_alu 0xfffe
	s_mul_hi_u32 s18, s21, s22
	s_mul_hi_u32 s22, ttmp9, s22
	s_mul_i32 s23, s18, s20
	v_mad_co_u64_u32 v[3:4], null, s12, v31, 0
	v_mov_b32_e32 v10, v18
	s_wait_alu 0xfffe
	s_sub_co_i32 s21, s21, s23
	s_add_co_i32 s23, s18, 1
	s_sub_co_i32 s24, s21, s20
	s_cmp_ge_u32 s21, s20
	v_mad_co_u64_u32 v[5:6], null, s12, v32, 0
	s_wait_alu 0xfffe
	s_cselect_b32 s18, s23, s18
	s_cselect_b32 s21, s24, s21
	s_add_co_i32 s23, s18, 1
	s_cmp_ge_u32 s21, s20
	s_mul_i32 s21, s22, s20
	s_wait_alu 0xfffe
	s_cselect_b32 s22, s23, s18
	s_sub_co_i32 s18, ttmp9, s21
	v_mad_co_u64_u32 v[7:8], null, s12, v33, 0
	s_sub_co_i32 s21, s18, s20
	s_cmp_ge_u32 s18, s20
	v_mad_co_u64_u32 v[13:14], null, s13, v31, v[4:5]
	s_cselect_b32 s18, s21, s18
	v_mul_lo_u32 v1, s14, v26
	s_sub_co_i32 s21, s18, s20
	s_cmp_ge_u32 s18, s20
	v_mad_co_u64_u32 v[14:15], null, s13, v32, v[6:7]
	s_cselect_b32 s18, s21, s18
	s_lshl_b64 s[20:21], s[6:7], 3
	v_mov_b32_e32 v4, v13
	s_add_nc_u64 s[6:7], s[10:11], s[20:21]
	v_mad_co_u64_u32 v[15:16], null, s13, v33, v[8:9]
	s_load_b64 s[10:11], s[6:7], 0x0
	s_lshl_b32 s6, s18, 3
	v_mov_b32_e32 v6, v14
	s_wait_kmcnt 0x0
	s_mul_i32 s7, s22, s15
	s_mul_i32 s15, s6, s14
	v_lshlrev_b64_e32 v[3:4], 4, v[3:4]
	s_wait_alu 0xfffe
	s_add_co_i32 s18, s15, s7
	v_lshlrev_b64_e32 v[5:6], 4, v[5:6]
	s_lshl_b64 s[18:19], s[18:19], 4
	v_mov_b32_e32 v8, v15
	v_lshlrev_b64_e32 v[13:14], 4, v[1:2]
	v_mad_co_u64_u32 v[16:17], null, s12, v39, 0
	v_mul_lo_u32 v1, s14, v27
	s_delay_alu instid0(VALU_DEP_4)
	v_lshlrev_b64_e32 v[7:8], 4, v[7:8]
	v_lshlrev_b64_e32 v[9:10], 4, v[9:10]
	v_mul_u32_u24_e32 v25, 0xc10, v25
	v_lshlrev_b32_e32 v31, 4, v31
	v_mul_u32_u24_e32 v26, 0xc10, v26
	v_mul_u32_u24_e32 v27, 0xc10, v27
	s_mul_u64 s[10:11], s[10:11], s[16:17]
	s_delay_alu instid0(SALU_CYCLE_1)
	s_lshl_b64 s[10:11], s[10:11], 4
	v_add3_u32 v25, 0, v25, v31
	s_add_nc_u64 s[8:9], s[8:9], s[10:11]
	v_lshlrev_b32_e32 v31, 4, v32
	s_add_nc_u64 s[8:9], s[8:9], s[18:19]
	v_lshlrev_b32_e32 v32, 4, v33
	v_add_co_u32 v3, vcc_lo, s8, v3
	v_add_co_ci_u32_e32 v4, vcc_lo, s9, v4, vcc_lo
	v_add_co_u32 v5, vcc_lo, s8, v5
	s_wait_alu 0xfffd
	v_add_co_ci_u32_e32 v6, vcc_lo, s9, v6, vcc_lo
	v_add_co_u32 v3, vcc_lo, v3, v11
	s_wait_alu 0xfffd
	v_add_co_ci_u32_e32 v4, vcc_lo, v4, v12, vcc_lo
	v_add_co_u32 v5, vcc_lo, v5, v13
	v_mad_co_u64_u32 v[11:12], null, s12, v42, 0
	s_wait_alu 0xfffd
	v_add_co_ci_u32_e32 v6, vcc_lo, v6, v14, vcc_lo
	v_add_co_u32 v15, vcc_lo, s8, v7
	v_mov_b32_e32 v7, v17
	s_wait_alu 0xfffd
	v_add_co_ci_u32_e32 v19, vcc_lo, s9, v8, vcc_lo
	v_lshlrev_b64_e32 v[13:14], 4, v[1:2]
	v_mul_lo_u32 v1, s14, v28
	v_mad_co_u64_u32 v[7:8], null, s13, v39, v[7:8]
	v_mov_b32_e32 v8, v12
	v_mul_u32_u24_e32 v28, 0xc10, v28
	v_add_co_u32 v13, vcc_lo, v15, v13
	s_wait_alu 0xfffd
	v_add_co_ci_u32_e32 v14, vcc_lo, v19, v14, vcc_lo
	v_mad_co_u64_u32 v[20:21], null, s13, v42, v[8:9]
	v_lshlrev_b64_e32 v[18:19], 4, v[1:2]
	v_mul_lo_u32 v1, s14, v29
	v_add_co_u32 v9, vcc_lo, s8, v9
	v_mov_b32_e32 v17, v7
	s_wait_alu 0xfffd
	v_add_co_ci_u32_e32 v10, vcc_lo, s9, v10, vcc_lo
	v_mov_b32_e32 v12, v20
	v_add_co_u32 v15, vcc_lo, v9, v18
	v_lshlrev_b64_e32 v[7:8], 4, v[16:17]
	s_wait_alu 0xfffd
	v_add_co_ci_u32_e32 v16, vcc_lo, v10, v19, vcc_lo
	v_lshlrev_b64_e32 v[9:10], 4, v[1:2]
	v_mul_lo_u32 v1, s14, v30
	v_lshlrev_b64_e32 v[11:12], 4, v[11:12]
	v_add_co_u32 v7, vcc_lo, s8, v7
	s_wait_alu 0xfffd
	v_add_co_ci_u32_e32 v8, vcc_lo, s9, v8, vcc_lo
	v_lshlrev_b32_e32 v33, 4, v34
	s_delay_alu instid0(VALU_DEP_4)
	v_add_co_u32 v11, vcc_lo, s8, v11
	v_lshlrev_b64_e32 v[1:2], 4, v[1:2]
	s_wait_alu 0xfffd
	v_add_co_ci_u32_e32 v12, vcc_lo, s9, v12, vcc_lo
	v_add_co_u32 v17, vcc_lo, v7, v9
	s_wait_alu 0xfffd
	v_add_co_ci_u32_e32 v18, vcc_lo, v8, v10, vcc_lo
	v_add_co_u32 v21, vcc_lo, v11, v1
	s_wait_alu 0xfffd
	v_add_co_ci_u32_e32 v22, vcc_lo, v12, v2, vcc_lo
	s_clause 0x5
	global_load_b128 v[1:4], v[3:4], off
	global_load_b128 v[5:8], v[5:6], off
	;; [unrolled: 1-line block ×6, first 2 shown]
	v_mul_u32_u24_e32 v29, 0xc10, v29
	v_lshlrev_b32_e32 v34, 4, v39
	v_mul_u32_u24_e32 v30, 0xc10, v30
	v_lshlrev_b32_e32 v39, 4, v42
	v_add3_u32 v26, 0, v26, v31
	v_add3_u32 v27, 0, v27, v32
	s_clause 0x1
	s_load_b128 s[8:11], s[2:3], 0x0
	s_load_b64 s[12:13], s[2:3], 0x10
	v_add3_u32 v28, 0, v28, v33
	s_add_nc_u64 s[2:3], s[2:3], s[20:21]
	v_add3_u32 v29, 0, v29, v34
	v_add3_u32 v30, 0, v30, v39
	s_load_b64 s[14:15], s[2:3], 0x0
	s_mov_b32 s2, 0xe8584caa
	s_mov_b32 s3, 0xbfebb67a
	;; [unrolled: 1-line block ×4, first 2 shown]
	v_add3_u32 v39, 0, v40, v38
	v_cmp_gt_u32_e32 vcc_lo, 16, v41
	s_wait_loadcnt 0x5
	ds_store_b128 v25, v[1:4]
	s_wait_loadcnt 0x4
	ds_store_b128 v26, v[5:8]
	;; [unrolled: 2-line block ×6, first 2 shown]
	global_wb scope:SCOPE_SE
	s_wait_dscnt 0x0
	s_wait_kmcnt 0x0
	s_barrier_signal -1
	s_barrier_wait -1
	global_inv scope:SCOPE_SE
	ds_load_b128 v[1:4], v35 offset:1536
	ds_load_b128 v[5:8], v35 offset:2560
	;; [unrolled: 1-line block ×3, first 2 shown]
	s_wait_dscnt 0x1
	v_add_f64_e32 v[13:14], v[3:4], v[7:8]
	v_add_f64_e32 v[21:22], v[1:2], v[5:6]
	v_add_f64_e64 v[23:24], v[1:2], -v[5:6]
	v_add_f64_e64 v[31:32], v[3:4], -v[7:8]
	s_wait_dscnt 0x0
	v_add_f64_e32 v[1:2], v[9:10], v[1:2]
	v_add_f64_e32 v[3:4], v[11:12], v[3:4]
	v_fma_f64 v[25:26], v[13:14], -0.5, v[11:12]
	ds_load_b128 v[13:16], v35 offset:1024
	ds_load_b128 v[17:20], v35 offset:2048
	v_fma_f64 v[33:34], v[21:22], -0.5, v[9:10]
	v_add_f64_e32 v[1:2], v[1:2], v[5:6]
	v_add_f64_e32 v[3:4], v[3:4], v[7:8]
	s_wait_dscnt 0x0
	v_add_f64_e32 v[27:28], v[13:14], v[17:18]
	v_add_f64_e32 v[29:30], v[15:16], v[19:20]
	v_add_f64_e64 v[46:47], v[15:16], -v[19:20]
	v_fma_f64 v[42:43], v[23:24], s[18:19], v[25:26]
	v_fma_f64 v[25:26], v[23:24], s[2:3], v[25:26]
	ds_load_b128 v[21:24], v39
	global_wb scope:SCOPE_SE
	s_wait_dscnt 0x0
	s_barrier_signal -1
	s_barrier_wait -1
	global_inv scope:SCOPE_SE
	v_add_f64_e32 v[44:45], v[21:22], v[13:14]
	v_add_f64_e32 v[15:16], v[23:24], v[15:16]
	v_add_f64_e64 v[13:14], v[13:14], -v[17:18]
	v_fma_f64 v[9:10], v[27:28], -0.5, v[21:22]
	v_fma_f64 v[11:12], v[29:30], -0.5, v[23:24]
	v_fma_f64 v[21:22], v[31:32], s[2:3], v[33:34]
	v_fma_f64 v[23:24], v[31:32], s[18:19], v[33:34]
	v_mul_f64_e32 v[27:28], s[2:3], v[42:43]
	v_mul_f64_e32 v[31:32], 0.5, v[42:43]
	v_mul_f64_e32 v[29:30], s[2:3], v[25:26]
	v_mul_f64_e32 v[25:26], -0.5, v[25:26]
	v_add_f64_e32 v[17:18], v[44:45], v[17:18]
	v_add_f64_e32 v[15:16], v[15:16], v[19:20]
	v_fma_f64 v[33:34], v[46:47], s[2:3], v[9:10]
	v_fma_f64 v[42:43], v[13:14], s[18:19], v[11:12]
	;; [unrolled: 1-line block ×4, first 2 shown]
	v_fma_f64 v[27:28], v[21:22], 0.5, v[27:28]
	v_fma_f64 v[31:32], v[21:22], s[18:19], v[31:32]
	v_fma_f64 v[29:30], v[23:24], -0.5, v[29:30]
	v_fma_f64 v[25:26], v[23:24], s[18:19], v[25:26]
	v_add_f64_e32 v[5:6], v[17:18], v[1:2]
	v_add_f64_e32 v[7:8], v[15:16], v[3:4]
	v_add_f64_e64 v[13:14], v[17:18], -v[1:2]
	v_add_f64_e64 v[15:16], v[15:16], -v[3:4]
	v_add_f64_e32 v[17:18], v[33:34], v[27:28]
	v_add_f64_e32 v[19:20], v[42:43], v[31:32]
	v_add_f64_e32 v[21:22], v[9:10], v[29:30]
	v_add_f64_e32 v[23:24], v[11:12], v[25:26]
	v_add_f64_e64 v[1:2], v[33:34], -v[27:28]
	v_add_f64_e64 v[3:4], v[42:43], -v[31:32]
	;; [unrolled: 1-line block ×4, first 2 shown]
	v_mad_u32_u24 v25, 0x50, v41, v35
	ds_store_b128 v25, v[5:8]
	ds_store_b128 v25, v[17:20] offset:16
	ds_store_b128 v25, v[21:24] offset:32
	;; [unrolled: 1-line block ×5, first 2 shown]
	global_wb scope:SCOPE_SE
	s_wait_dscnt 0x0
	s_barrier_signal -1
	s_barrier_wait -1
	global_inv scope:SCOPE_SE
	ds_load_b128 v[5:8], v39
	ds_load_b128 v[21:24], v35 offset:768
	ds_load_b128 v[17:20], v35 offset:1536
	;; [unrolled: 1-line block ×3, first 2 shown]
                                        ; implicit-def: $vgpr27_vgpr28
                                        ; implicit-def: $vgpr31_vgpr32
	s_and_saveexec_b32 s2, vcc_lo
	s_cbranch_execz .LBB0_2
; %bb.1:
	ds_load_b128 v[1:4], v35 offset:512
	ds_load_b128 v[9:12], v35 offset:1280
	;; [unrolled: 1-line block ×4, first 2 shown]
.LBB0_2:
	s_wait_alu 0xfffe
	s_or_b32 exec_lo, exec_lo, s2
	v_mul_lo_u16 v33, v41, 43
	v_or_b32_e32 v42, 32, v41
	s_delay_alu instid0(VALU_DEP_2) | instskip(NEXT) | instid1(VALU_DEP_2)
	v_lshrrev_b16 v80, 8, v33
	v_mul_lo_u16 v43, v42, 43
	s_delay_alu instid0(VALU_DEP_2) | instskip(NEXT) | instid1(VALU_DEP_2)
	v_mul_lo_u16 v34, v80, 6
	v_lshrrev_b16 v33, 8, v43
	s_delay_alu instid0(VALU_DEP_2) | instskip(NEXT) | instid1(VALU_DEP_2)
	v_sub_nc_u16 v81, v41, v34
	v_mul_lo_u16 v34, v33, 6
	s_delay_alu instid0(VALU_DEP_2) | instskip(NEXT) | instid1(VALU_DEP_2)
	v_mul_lo_u16 v44, v81, 3
	v_sub_nc_u16 v34, v42, v34
	s_delay_alu instid0(VALU_DEP_2) | instskip(NEXT) | instid1(VALU_DEP_2)
	v_and_b32_e32 v44, 0xff, v44
	v_mul_lo_u16 v45, v34, 3
	s_delay_alu instid0(VALU_DEP_2) | instskip(NEXT) | instid1(VALU_DEP_2)
	v_lshlrev_b32_e32 v52, 4, v44
	v_and_b32_e32 v48, 0xff, v45
	global_load_b128 v[44:47], v52, s[4:5]
	v_lshlrev_b32_e32 v64, 4, v48
	s_clause 0x4
	global_load_b128 v[48:51], v52, s[4:5] offset:16
	global_load_b128 v[52:55], v52, s[4:5] offset:32
	global_load_b128 v[56:59], v64, s[4:5]
	global_load_b128 v[60:63], v64, s[4:5] offset:16
	global_load_b128 v[64:67], v64, s[4:5] offset:32
	global_wb scope:SCOPE_SE
	s_wait_loadcnt_dscnt 0x0
	s_barrier_signal -1
	s_barrier_wait -1
	global_inv scope:SCOPE_SE
	v_mul_f64_e32 v[70:71], v[19:20], v[50:51]
	v_mul_f64_e32 v[68:69], v[23:24], v[46:47]
	;; [unrolled: 1-line block ×12, first 2 shown]
	v_fma_f64 v[17:18], v[17:18], v[48:49], v[70:71]
	v_fma_f64 v[21:22], v[21:22], v[44:45], v[68:69]
	v_fma_f64 v[23:24], v[23:24], v[44:45], -v[46:47]
	v_fma_f64 v[19:20], v[19:20], v[48:49], -v[50:51]
	v_fma_f64 v[13:14], v[13:14], v[52:53], v[72:73]
	v_fma_f64 v[15:16], v[15:16], v[52:53], -v[54:55]
	v_fma_f64 v[9:10], v[9:10], v[56:57], v[74:75]
	;; [unrolled: 2-line block ×4, first 2 shown]
	v_fma_f64 v[31:32], v[31:32], v[64:65], -v[66:67]
	v_add_f64_e64 v[44:45], v[5:6], -v[17:18]
	v_add_f64_e64 v[46:47], v[7:8], -v[19:20]
	;; [unrolled: 1-line block ×8, first 2 shown]
	v_fma_f64 v[5:6], v[5:6], 2.0, -v[44:45]
	v_fma_f64 v[7:8], v[7:8], 2.0, -v[46:47]
	;; [unrolled: 1-line block ×4, first 2 shown]
	v_add_f64_e32 v[17:18], v[44:45], v[15:16]
	v_add_f64_e64 v[19:20], v[46:47], -v[13:14]
	v_fma_f64 v[1:2], v[1:2], 2.0, -v[48:49]
	v_fma_f64 v[3:4], v[3:4], 2.0, -v[50:51]
	;; [unrolled: 1-line block ×4, first 2 shown]
	v_add_f64_e32 v[13:14], v[48:49], v[27:28]
	v_add_f64_e64 v[15:16], v[50:51], -v[25:26]
	v_add_f64_e64 v[21:22], v[5:6], -v[21:22]
	;; [unrolled: 1-line block ×3, first 2 shown]
	v_fma_f64 v[25:26], v[44:45], 2.0, -v[17:18]
	v_fma_f64 v[27:28], v[46:47], 2.0, -v[19:20]
	v_mul_lo_u16 v44, v80, 24
	v_add_f64_e64 v[9:10], v[1:2], -v[9:10]
	v_add_f64_e64 v[11:12], v[3:4], -v[11:12]
	s_delay_alu instid0(VALU_DEP_3) | instskip(NEXT) | instid1(VALU_DEP_1)
	v_or_b32_e32 v44, v44, v81
	v_and_b32_e32 v44, 0xff, v44
	s_delay_alu instid0(VALU_DEP_1) | instskip(NEXT) | instid1(VALU_DEP_1)
	v_lshlrev_b32_e32 v44, 4, v44
	v_add3_u32 v44, 0, v44, v40
	v_fma_f64 v[29:30], v[5:6], 2.0, -v[21:22]
	v_fma_f64 v[31:32], v[7:8], 2.0, -v[23:24]
	;; [unrolled: 1-line block ×4, first 2 shown]
	ds_store_b128 v44, v[29:32]
	ds_store_b128 v44, v[25:28] offset:96
	ds_store_b128 v44, v[21:24] offset:192
	;; [unrolled: 1-line block ×3, first 2 shown]
	v_fma_f64 v[1:2], v[1:2], 2.0, -v[9:10]
	v_fma_f64 v[3:4], v[3:4], 2.0, -v[11:12]
	s_and_saveexec_b32 s2, vcc_lo
	s_cbranch_execz .LBB0_4
; %bb.3:
	v_mul_lo_u16 v17, v33, 24
	s_delay_alu instid0(VALU_DEP_1) | instskip(NEXT) | instid1(VALU_DEP_1)
	v_or_b32_e32 v17, v17, v34
	v_and_b32_e32 v17, 0xff, v17
	s_delay_alu instid0(VALU_DEP_1) | instskip(NEXT) | instid1(VALU_DEP_1)
	v_lshlrev_b32_e32 v17, 4, v17
	v_add3_u32 v17, 0, v17, v40
	ds_store_b128 v17, v[1:4]
	ds_store_b128 v17, v[5:8] offset:96
	ds_store_b128 v17, v[9:12] offset:192
	;; [unrolled: 1-line block ×3, first 2 shown]
.LBB0_4:
	s_wait_alu 0xfffe
	s_or_b32 exec_lo, exec_lo, s2
	global_wb scope:SCOPE_SE
	s_wait_dscnt 0x0
	s_barrier_signal -1
	s_barrier_wait -1
	global_inv scope:SCOPE_SE
	ds_load_b128 v[17:20], v39
	ds_load_b128 v[29:32], v35 offset:768
	ds_load_b128 v[25:28], v35 offset:1536
	;; [unrolled: 1-line block ×3, first 2 shown]
	s_and_saveexec_b32 s2, vcc_lo
	s_cbranch_execz .LBB0_6
; %bb.5:
	ds_load_b128 v[1:4], v35 offset:512
	ds_load_b128 v[5:8], v35 offset:1280
	;; [unrolled: 1-line block ×4, first 2 shown]
.LBB0_6:
	s_wait_alu 0xfffe
	s_or_b32 exec_lo, exec_lo, s2
	v_subrev_nc_u32_e32 v33, 24, v41
	v_cmp_gt_u32_e64 s2, 24, v41
	v_mov_b32_e32 v34, 0
	s_load_b64 s[0:1], s[0:1], 0x60
	s_mov_b32 s3, 0
	s_delay_alu instid0(VALU_DEP_2) | instskip(NEXT) | instid1(VALU_DEP_1)
	v_cndmask_b32_e64 v62, v33, v41, s2
	v_mul_i32_i24_e32 v33, 3, v62
	s_delay_alu instid0(VALU_DEP_1) | instskip(NEXT) | instid1(VALU_DEP_1)
	v_lshlrev_b64_e32 v[44:45], 4, v[33:34]
	v_add_co_u32 v52, s2, s4, v44
	s_wait_alu 0xf1ff
	s_delay_alu instid0(VALU_DEP_2)
	v_add_co_ci_u32_e64 v53, s2, s5, v45, s2
	v_cmp_lt_u32_e64 s2, 23, v41
	s_clause 0x2
	global_load_b128 v[44:47], v[52:53], off offset:288
	global_load_b128 v[48:51], v[52:53], off offset:304
	;; [unrolled: 1-line block ×3, first 2 shown]
	global_wb scope:SCOPE_SE
	s_wait_loadcnt_dscnt 0x0
	s_wait_alu 0xf1ff
	v_cndmask_b32_e64 v33, 0, 0x60, s2
	s_wait_kmcnt 0x0
	s_barrier_signal -1
	s_barrier_wait -1
	global_inv scope:SCOPE_SE
	v_or_b32_e32 v33, v33, v62
	s_delay_alu instid0(VALU_DEP_1) | instskip(NEXT) | instid1(VALU_DEP_1)
	v_lshlrev_b32_e32 v33, 4, v33
	v_add3_u32 v33, 0, v33, v40
	v_mul_f64_e32 v[56:57], v[31:32], v[46:47]
	v_mul_f64_e32 v[46:47], v[29:30], v[46:47]
	;; [unrolled: 1-line block ×6, first 2 shown]
	v_fma_f64 v[29:30], v[29:30], v[44:45], v[56:57]
	v_fma_f64 v[31:32], v[31:32], v[44:45], -v[46:47]
	v_fma_f64 v[25:26], v[25:26], v[48:49], v[58:59]
	v_fma_f64 v[27:28], v[27:28], v[48:49], -v[50:51]
	;; [unrolled: 2-line block ×3, first 2 shown]
	s_delay_alu instid0(VALU_DEP_4) | instskip(NEXT) | instid1(VALU_DEP_4)
	v_add_f64_e64 v[25:26], v[17:18], -v[25:26]
	v_add_f64_e64 v[27:28], v[19:20], -v[27:28]
	s_delay_alu instid0(VALU_DEP_4) | instskip(NEXT) | instid1(VALU_DEP_4)
	v_add_f64_e64 v[44:45], v[29:30], -v[21:22]
	v_add_f64_e64 v[21:22], v[31:32], -v[23:24]
	s_delay_alu instid0(VALU_DEP_4) | instskip(NEXT) | instid1(VALU_DEP_4)
	v_fma_f64 v[46:47], v[17:18], 2.0, -v[25:26]
	v_fma_f64 v[48:49], v[19:20], 2.0, -v[27:28]
	s_delay_alu instid0(VALU_DEP_4) | instskip(NEXT) | instid1(VALU_DEP_4)
	v_fma_f64 v[19:20], v[29:30], 2.0, -v[44:45]
	v_fma_f64 v[23:24], v[31:32], 2.0, -v[21:22]
	v_add_f64_e32 v[17:18], v[25:26], v[21:22]
	s_delay_alu instid0(VALU_DEP_3) | instskip(NEXT) | instid1(VALU_DEP_3)
	v_add_f64_e64 v[21:22], v[46:47], -v[19:20]
	v_add_f64_e64 v[23:24], v[48:49], -v[23:24]
	v_add_f64_e64 v[19:20], v[27:28], -v[44:45]
	s_delay_alu instid0(VALU_DEP_4) | instskip(NEXT) | instid1(VALU_DEP_4)
	v_fma_f64 v[25:26], v[25:26], 2.0, -v[17:18]
	v_fma_f64 v[29:30], v[46:47], 2.0, -v[21:22]
	s_delay_alu instid0(VALU_DEP_4) | instskip(NEXT) | instid1(VALU_DEP_4)
	v_fma_f64 v[31:32], v[48:49], 2.0, -v[23:24]
	v_fma_f64 v[27:28], v[27:28], 2.0, -v[19:20]
	ds_store_b128 v33, v[29:32]
	ds_store_b128 v33, v[25:28] offset:384
	ds_store_b128 v33, v[21:24] offset:768
	;; [unrolled: 1-line block ×3, first 2 shown]
	s_and_saveexec_b32 s2, vcc_lo
	s_cbranch_execz .LBB0_8
; %bb.7:
	v_lshrrev_b16 v17, 10, v43
	s_delay_alu instid0(VALU_DEP_1) | instskip(NEXT) | instid1(VALU_DEP_1)
	v_mul_lo_u16 v17, v17, 24
	v_sub_nc_u16 v17, v42, v17
	s_delay_alu instid0(VALU_DEP_1) | instskip(NEXT) | instid1(VALU_DEP_1)
	v_and_b32_e32 v33, 0xff, v17
	v_mul_u32_u24_e32 v17, 3, v33
	s_delay_alu instid0(VALU_DEP_1)
	v_lshlrev_b32_e32 v25, 4, v17
	s_clause 0x2
	global_load_b128 v[17:20], v25, s[4:5] offset:304
	global_load_b128 v[21:24], v25, s[4:5] offset:288
	;; [unrolled: 1-line block ×3, first 2 shown]
	s_wait_loadcnt 0x2
	v_mul_f64_e32 v[29:30], v[9:10], v[19:20]
	s_wait_loadcnt 0x1
	v_mul_f64_e32 v[31:32], v[7:8], v[23:24]
	v_mul_f64_e32 v[23:24], v[5:6], v[23:24]
	s_wait_loadcnt 0x0
	v_mul_f64_e32 v[41:42], v[13:14], v[27:28]
	v_mul_f64_e32 v[19:20], v[11:12], v[19:20]
	;; [unrolled: 1-line block ×3, first 2 shown]
	v_fma_f64 v[11:12], v[11:12], v[17:18], -v[29:30]
	v_fma_f64 v[5:6], v[5:6], v[21:22], v[31:32]
	v_fma_f64 v[7:8], v[7:8], v[21:22], -v[23:24]
	v_fma_f64 v[15:16], v[15:16], v[25:26], -v[41:42]
	v_fma_f64 v[9:10], v[9:10], v[17:18], v[19:20]
	v_fma_f64 v[13:14], v[13:14], v[25:26], v[27:28]
	v_add_f64_e64 v[11:12], v[3:4], -v[11:12]
	s_delay_alu instid0(VALU_DEP_4) | instskip(NEXT) | instid1(VALU_DEP_4)
	v_add_f64_e64 v[15:16], v[7:8], -v[15:16]
	v_add_f64_e64 v[9:10], v[1:2], -v[9:10]
	s_delay_alu instid0(VALU_DEP_4) | instskip(NEXT) | instid1(VALU_DEP_4)
	v_add_f64_e64 v[13:14], v[5:6], -v[13:14]
	v_fma_f64 v[17:18], v[3:4], 2.0, -v[11:12]
	s_delay_alu instid0(VALU_DEP_4) | instskip(NEXT) | instid1(VALU_DEP_4)
	v_fma_f64 v[7:8], v[7:8], 2.0, -v[15:16]
	v_fma_f64 v[19:20], v[1:2], 2.0, -v[9:10]
	s_delay_alu instid0(VALU_DEP_4) | instskip(SKIP_1) | instid1(VALU_DEP_4)
	v_fma_f64 v[1:2], v[5:6], 2.0, -v[13:14]
	v_add_f64_e64 v[3:4], v[11:12], -v[13:14]
	v_add_f64_e64 v[7:8], v[17:18], -v[7:8]
	s_delay_alu instid0(VALU_DEP_3) | instskip(SKIP_1) | instid1(VALU_DEP_4)
	v_add_f64_e64 v[5:6], v[19:20], -v[1:2]
	v_add_f64_e32 v[1:2], v[9:10], v[15:16]
	v_fma_f64 v[11:12], v[11:12], 2.0, -v[3:4]
	s_delay_alu instid0(VALU_DEP_4) | instskip(SKIP_3) | instid1(VALU_DEP_3)
	v_fma_f64 v[15:16], v[17:18], 2.0, -v[7:8]
	v_lshlrev_b32_e32 v17, 4, v33
	v_fma_f64 v[13:14], v[19:20], 2.0, -v[5:6]
	v_fma_f64 v[9:10], v[9:10], 2.0, -v[1:2]
	v_add3_u32 v17, 0, v17, v40
	ds_store_b128 v17, v[13:16] offset:1536
	ds_store_b128 v17, v[9:12] offset:1920
	;; [unrolled: 1-line block ×4, first 2 shown]
.LBB0_8:
	s_wait_alu 0xfffe
	s_or_b32 exec_lo, exec_lo, s2
	global_wb scope:SCOPE_SE
	s_wait_dscnt 0x0
	s_barrier_signal -1
	s_barrier_wait -1
	global_inv scope:SCOPE_SE
	s_clause 0x2
	global_load_b128 v[1:4], v38, s[4:5] offset:1440
	global_load_b128 v[5:8], v38, s[4:5] offset:1952
	;; [unrolled: 1-line block ×3, first 2 shown]
	ds_load_b128 v[13:16], v35 offset:1536
	ds_load_b128 v[17:20], v35 offset:2048
	;; [unrolled: 1-line block ×4, first 2 shown]
	v_lshrrev_b32_e32 v42, 3, v0
	s_mul_i32 s2, s22, s10
	s_lshl_b32 s10, s12, 5
	v_cmp_gt_u32_e32 vcc_lo, 8, v0
	s_mov_b32 s7, s3
	v_mul_lo_u32 v33, v42, s12
	v_lshl_add_u32 v43, v36, 4, v37
	s_mul_u64 s[6:7], s[8:9], s[6:7]
	s_mul_u64 s[4:5], s[14:15], s[16:17]
	s_lshl_b64 s[6:7], s[6:7], 4
	s_wait_alu 0xfffe
	s_lshl_b64 s[2:3], s[2:3], 4
	s_add_nc_u64 s[0:1], s[0:1], s[6:7]
	s_lshl_b64 s[4:5], s[4:5], 4
	s_wait_alu 0xfffe
	s_add_nc_u64 s[0:1], s[0:1], s[2:3]
	s_delay_alu instid0(SALU_CYCLE_1)
	s_add_nc_u64 s[0:1], s[0:1], s[4:5]
	s_wait_loadcnt_dscnt 0x203
	v_mul_f64_e32 v[29:30], v[15:16], v[3:4]
	v_mul_f64_e32 v[3:4], v[13:14], v[3:4]
	s_wait_loadcnt_dscnt 0x102
	v_mul_f64_e32 v[31:32], v[19:20], v[7:8]
	v_mul_f64_e32 v[7:8], v[17:18], v[7:8]
	;; [unrolled: 3-line block ×3, first 2 shown]
	v_fma_f64 v[13:14], v[13:14], v[1:2], v[29:30]
	v_fma_f64 v[15:16], v[15:16], v[1:2], -v[3:4]
	v_fma_f64 v[17:18], v[17:18], v[5:6], v[31:32]
	v_fma_f64 v[19:20], v[19:20], v[5:6], -v[7:8]
	;; [unrolled: 2-line block ×3, first 2 shown]
	ds_load_b128 v[1:4], v39
	ds_load_b128 v[5:8], v35 offset:512
	v_and_b32_e32 v40, 7, v0
	v_lshlrev_b64_e32 v[31:32], 4, v[33:34]
	global_wb scope:SCOPE_SE
	s_wait_dscnt 0x0
	s_barrier_signal -1
	s_barrier_wait -1
	v_mad_co_u64_u32 v[29:30], null, s8, v40, 0
	v_add_nc_u32_e32 v33, s10, v33
	global_inv scope:SCOPE_SE
	v_mov_b32_e32 v0, v30
	v_lshlrev_b64_e32 v[36:37], 4, v[33:34]
	v_add_f64_e64 v[9:10], v[1:2], -v[13:14]
	v_add_f64_e64 v[11:12], v[3:4], -v[15:16]
	;; [unrolled: 1-line block ×6, first 2 shown]
	v_fma_f64 v[21:22], v[1:2], 2.0, -v[9:10]
	v_fma_f64 v[23:24], v[3:4], 2.0, -v[11:12]
	;; [unrolled: 1-line block ×6, first 2 shown]
	v_mad_co_u64_u32 v[1:2], null, s9, v40, v[0:1]
	v_add_nc_u32_e32 v33, s10, v33
	v_mad_u32_u24 v0, 0xc10, v40, 0
	ds_store_b128 v43, v[13:16] offset:2048
	ds_store_b128 v43, v[17:20] offset:2560
	ds_store_b128 v35, v[21:24]
	ds_store_b128 v35, v[3:6] offset:512
	ds_store_b128 v35, v[9:12] offset:1536
	ds_store_b128 v35, v[25:28] offset:1024
	v_mov_b32_e32 v30, v1
	v_lshl_add_u32 v42, v42, 4, v0
	v_lshlrev_b64_e32 v[38:39], 4, v[33:34]
	v_add_nc_u32_e32 v33, s10, v33
	global_wb scope:SCOPE_SE
	s_wait_dscnt 0x0
	v_lshlrev_b64_e32 v[1:2], 4, v[29:30]
	s_barrier_signal -1
	s_barrier_wait -1
	global_inv scope:SCOPE_SE
	ds_load_b128 v[3:6], v42
	ds_load_b128 v[7:10], v42 offset:512
	ds_load_b128 v[11:14], v42 offset:1024
	;; [unrolled: 1-line block ×5, first 2 shown]
	v_lshlrev_b64_e32 v[40:41], 4, v[33:34]
	v_add_co_u32 v1, s0, s0, v1
	s_wait_alu 0xf1ff
	v_add_co_ci_u32_e64 v2, s0, s1, v2, s0
	v_add_nc_u32_e32 v33, s10, v33
	s_delay_alu instid0(VALU_DEP_3) | instskip(SKIP_1) | instid1(VALU_DEP_3)
	v_add_co_u32 v31, s0, v1, v31
	s_wait_alu 0xf1ff
	v_add_co_ci_u32_e64 v32, s0, v2, v32, s0
	v_add_co_u32 v36, s0, v1, v36
	v_lshlrev_b64_e32 v[29:30], 4, v[33:34]
	v_add_nc_u32_e32 v33, s10, v33
	s_wait_alu 0xf1ff
	v_add_co_ci_u32_e64 v37, s0, v2, v37, s0
	v_add_co_u32 v27, s0, v1, v38
	s_wait_alu 0xf1ff
	v_add_co_ci_u32_e64 v28, s0, v2, v39, s0
	v_lshlrev_b64_e32 v[33:34], 4, v[33:34]
	v_add_co_u32 v38, s0, v1, v40
	s_wait_alu 0xf1ff
	v_add_co_ci_u32_e64 v39, s0, v2, v41, s0
	v_add_co_u32 v29, s0, v1, v29
	s_wait_alu 0xf1ff
	v_add_co_ci_u32_e64 v30, s0, v2, v30, s0
	;; [unrolled: 3-line block ×3, first 2 shown]
	s_wait_dscnt 0x5
	global_store_b128 v[31:32], v[3:6], off
	s_wait_dscnt 0x4
	global_store_b128 v[36:37], v[7:10], off
	;; [unrolled: 2-line block ×6, first 2 shown]
	s_and_saveexec_b32 s0, vcc_lo
	s_cbranch_execz .LBB0_10
; %bb.9:
	ds_load_b128 v[3:6], v0 offset:3072
	s_mul_i32 s0, s12, 0xc0
	s_mov_b32 s1, 0
	s_wait_alu 0xfffe
	s_lshl_b64 s[0:1], s[0:1], 4
	s_wait_alu 0xfffe
	v_add_co_u32 v0, vcc_lo, v1, s0
	s_wait_alu 0xfffd
	v_add_co_ci_u32_e32 v1, vcc_lo, s1, v2, vcc_lo
	s_wait_dscnt 0x0
	global_store_b128 v[0:1], v[3:6], off
.LBB0_10:
	s_nop 0
	s_sendmsg sendmsg(MSG_DEALLOC_VGPRS)
	s_endpgm
	.section	.rodata,"a",@progbits
	.p2align	6, 0x0
	.amdhsa_kernel fft_rtc_back_len192_factors_6_4_4_2_wgs_256_tpt_32_dp_op_CI_CI_sbrc_erc_z_xy_aligned
		.amdhsa_group_segment_fixed_size 0
		.amdhsa_private_segment_fixed_size 0
		.amdhsa_kernarg_size 104
		.amdhsa_user_sgpr_count 2
		.amdhsa_user_sgpr_dispatch_ptr 0
		.amdhsa_user_sgpr_queue_ptr 0
		.amdhsa_user_sgpr_kernarg_segment_ptr 1
		.amdhsa_user_sgpr_dispatch_id 0
		.amdhsa_user_sgpr_private_segment_size 0
		.amdhsa_wavefront_size32 1
		.amdhsa_uses_dynamic_stack 0
		.amdhsa_enable_private_segment 0
		.amdhsa_system_sgpr_workgroup_id_x 1
		.amdhsa_system_sgpr_workgroup_id_y 0
		.amdhsa_system_sgpr_workgroup_id_z 0
		.amdhsa_system_sgpr_workgroup_info 0
		.amdhsa_system_vgpr_workitem_id 0
		.amdhsa_next_free_vgpr 82
		.amdhsa_next_free_sgpr 26
		.amdhsa_reserve_vcc 1
		.amdhsa_float_round_mode_32 0
		.amdhsa_float_round_mode_16_64 0
		.amdhsa_float_denorm_mode_32 3
		.amdhsa_float_denorm_mode_16_64 3
		.amdhsa_fp16_overflow 0
		.amdhsa_workgroup_processor_mode 1
		.amdhsa_memory_ordered 1
		.amdhsa_forward_progress 0
		.amdhsa_round_robin_scheduling 0
		.amdhsa_exception_fp_ieee_invalid_op 0
		.amdhsa_exception_fp_denorm_src 0
		.amdhsa_exception_fp_ieee_div_zero 0
		.amdhsa_exception_fp_ieee_overflow 0
		.amdhsa_exception_fp_ieee_underflow 0
		.amdhsa_exception_fp_ieee_inexact 0
		.amdhsa_exception_int_div_zero 0
	.end_amdhsa_kernel
	.text
.Lfunc_end0:
	.size	fft_rtc_back_len192_factors_6_4_4_2_wgs_256_tpt_32_dp_op_CI_CI_sbrc_erc_z_xy_aligned, .Lfunc_end0-fft_rtc_back_len192_factors_6_4_4_2_wgs_256_tpt_32_dp_op_CI_CI_sbrc_erc_z_xy_aligned
                                        ; -- End function
	.section	.AMDGPU.csdata,"",@progbits
; Kernel info:
; codeLenInByte = 4864
; NumSgprs: 28
; NumVgprs: 82
; ScratchSize: 0
; MemoryBound: 0
; FloatMode: 240
; IeeeMode: 1
; LDSByteSize: 0 bytes/workgroup (compile time only)
; SGPRBlocks: 3
; VGPRBlocks: 10
; NumSGPRsForWavesPerEU: 28
; NumVGPRsForWavesPerEU: 82
; Occupancy: 16
; WaveLimiterHint : 1
; COMPUTE_PGM_RSRC2:SCRATCH_EN: 0
; COMPUTE_PGM_RSRC2:USER_SGPR: 2
; COMPUTE_PGM_RSRC2:TRAP_HANDLER: 0
; COMPUTE_PGM_RSRC2:TGID_X_EN: 1
; COMPUTE_PGM_RSRC2:TGID_Y_EN: 0
; COMPUTE_PGM_RSRC2:TGID_Z_EN: 0
; COMPUTE_PGM_RSRC2:TIDIG_COMP_CNT: 0
	.text
	.p2alignl 7, 3214868480
	.fill 96, 4, 3214868480
	.type	__hip_cuid_5f142d5691be52de,@object ; @__hip_cuid_5f142d5691be52de
	.section	.bss,"aw",@nobits
	.globl	__hip_cuid_5f142d5691be52de
__hip_cuid_5f142d5691be52de:
	.byte	0                               ; 0x0
	.size	__hip_cuid_5f142d5691be52de, 1

	.ident	"AMD clang version 19.0.0git (https://github.com/RadeonOpenCompute/llvm-project roc-6.4.0 25133 c7fe45cf4b819c5991fe208aaa96edf142730f1d)"
	.section	".note.GNU-stack","",@progbits
	.addrsig
	.addrsig_sym __hip_cuid_5f142d5691be52de
	.amdgpu_metadata
---
amdhsa.kernels:
  - .args:
      - .actual_access:  read_only
        .address_space:  global
        .offset:         0
        .size:           8
        .value_kind:     global_buffer
      - .offset:         8
        .size:           8
        .value_kind:     by_value
      - .actual_access:  read_only
        .address_space:  global
        .offset:         16
        .size:           8
        .value_kind:     global_buffer
      - .actual_access:  read_only
        .address_space:  global
        .offset:         24
        .size:           8
        .value_kind:     global_buffer
      - .actual_access:  read_only
        .address_space:  global
        .offset:         32
        .size:           8
        .value_kind:     global_buffer
      - .offset:         40
        .size:           8
        .value_kind:     by_value
      - .actual_access:  read_only
        .address_space:  global
        .offset:         48
        .size:           8
        .value_kind:     global_buffer
      - .actual_access:  read_only
        .address_space:  global
        .offset:         56
        .size:           8
        .value_kind:     global_buffer
      - .offset:         64
        .size:           4
        .value_kind:     by_value
      - .actual_access:  read_only
        .address_space:  global
        .offset:         72
        .size:           8
        .value_kind:     global_buffer
      - .actual_access:  read_only
        .address_space:  global
        .offset:         80
        .size:           8
        .value_kind:     global_buffer
      - .actual_access:  read_only
        .address_space:  global
        .offset:         88
        .size:           8
        .value_kind:     global_buffer
      - .actual_access:  write_only
        .address_space:  global
        .offset:         96
        .size:           8
        .value_kind:     global_buffer
    .group_segment_fixed_size: 0
    .kernarg_segment_align: 8
    .kernarg_segment_size: 104
    .language:       OpenCL C
    .language_version:
      - 2
      - 0
    .max_flat_workgroup_size: 256
    .name:           fft_rtc_back_len192_factors_6_4_4_2_wgs_256_tpt_32_dp_op_CI_CI_sbrc_erc_z_xy_aligned
    .private_segment_fixed_size: 0
    .sgpr_count:     28
    .sgpr_spill_count: 0
    .symbol:         fft_rtc_back_len192_factors_6_4_4_2_wgs_256_tpt_32_dp_op_CI_CI_sbrc_erc_z_xy_aligned.kd
    .uniform_work_group_size: 1
    .uses_dynamic_stack: false
    .vgpr_count:     82
    .vgpr_spill_count: 0
    .wavefront_size: 32
    .workgroup_processor_mode: 1
amdhsa.target:   amdgcn-amd-amdhsa--gfx1201
amdhsa.version:
  - 1
  - 2
...

	.end_amdgpu_metadata
